;; amdgpu-corpus repo=ROCm/rocFFT kind=compiled arch=gfx1201 opt=O3
	.text
	.amdgcn_target "amdgcn-amd-amdhsa--gfx1201"
	.amdhsa_code_object_version 6
	.protected	fft_rtc_back_len96_factors_8_3_4_wgs_256_tpt_32_half_op_CI_CI_sbcc_twdbase8_3step ; -- Begin function fft_rtc_back_len96_factors_8_3_4_wgs_256_tpt_32_half_op_CI_CI_sbcc_twdbase8_3step
	.globl	fft_rtc_back_len96_factors_8_3_4_wgs_256_tpt_32_half_op_CI_CI_sbcc_twdbase8_3step
	.p2align	8
	.type	fft_rtc_back_len96_factors_8_3_4_wgs_256_tpt_32_half_op_CI_CI_sbcc_twdbase8_3step,@function
fft_rtc_back_len96_factors_8_3_4_wgs_256_tpt_32_half_op_CI_CI_sbcc_twdbase8_3step: ; @fft_rtc_back_len96_factors_8_3_4_wgs_256_tpt_32_half_op_CI_CI_sbcc_twdbase8_3step
; %bb.0:
	s_clause 0x1
	s_load_b128 s[16:19], s[0:1], 0x18
	s_load_b64 s[28:29], s[0:1], 0x28
	s_mov_b32 s36, ttmp9
	s_mov_b32 s37, 0
	s_mov_b64 s[22:23], 0
	s_wait_kmcnt 0x0
	s_load_b64 s[30:31], s[16:17], 0x8
	s_wait_kmcnt 0x0
	s_add_nc_u64 s[2:3], s[30:31], -1
	s_delay_alu instid0(SALU_CYCLE_1) | instskip(NEXT) | instid1(SALU_CYCLE_1)
	s_lshr_b64 s[2:3], s[2:3], 3
	s_add_nc_u64 s[2:3], s[2:3], 1
	s_delay_alu instid0(SALU_CYCLE_1) | instskip(NEXT) | instid1(VALU_DEP_1)
	v_cmp_lt_u64_e64 s4, s[36:37], s[2:3]
	s_and_b32 vcc_lo, exec_lo, s4
	s_cbranch_vccnz .LBB0_2
; %bb.1:
	v_cvt_f32_u32_e32 v1, s2
	s_sub_co_i32 s5, 0, s2
	s_mov_b32 s23, s37
	s_delay_alu instid0(VALU_DEP_1) | instskip(NEXT) | instid1(TRANS32_DEP_1)
	v_rcp_iflag_f32_e32 v1, v1
	v_mul_f32_e32 v1, 0x4f7ffffe, v1
	s_delay_alu instid0(VALU_DEP_1) | instskip(NEXT) | instid1(VALU_DEP_1)
	v_cvt_u32_f32_e32 v1, v1
	v_readfirstlane_b32 s4, v1
	s_delay_alu instid0(VALU_DEP_1) | instskip(NEXT) | instid1(SALU_CYCLE_1)
	s_mul_i32 s5, s5, s4
	s_mul_hi_u32 s5, s4, s5
	s_delay_alu instid0(SALU_CYCLE_1) | instskip(NEXT) | instid1(SALU_CYCLE_1)
	s_add_co_i32 s4, s4, s5
	s_mul_hi_u32 s4, s36, s4
	s_delay_alu instid0(SALU_CYCLE_1) | instskip(SKIP_2) | instid1(SALU_CYCLE_1)
	s_mul_i32 s5, s4, s2
	s_add_co_i32 s6, s4, 1
	s_sub_co_i32 s5, s36, s5
	s_sub_co_i32 s7, s5, s2
	s_cmp_ge_u32 s5, s2
	s_cselect_b32 s4, s6, s4
	s_cselect_b32 s5, s7, s5
	s_add_co_i32 s6, s4, 1
	s_cmp_ge_u32 s5, s2
	s_cselect_b32 s22, s6, s4
.LBB0_2:
	s_load_b128 s[8:11], s[0:1], 0x8
	s_load_b128 s[12:15], s[18:19], 0x0
	;; [unrolled: 1-line block ×3, first 2 shown]
	s_load_b64 s[24:25], s[0:1], 0x0
	s_mul_u64 s[20:21], s[22:23], s[2:3]
	s_delay_alu instid0(SALU_CYCLE_1) | instskip(NEXT) | instid1(SALU_CYCLE_1)
	s_sub_nc_u64 s[20:21], s[36:37], s[20:21]
	s_lshl_b64 s[26:27], s[20:21], 3
	s_wait_kmcnt 0x0
	v_cmp_lt_u64_e64 s33, s[10:11], 3
	s_mul_u64 s[34:35], s[14:15], s[26:27]
	s_mul_u64 s[20:21], s[6:7], s[26:27]
	s_delay_alu instid0(VALU_DEP_1)
	s_and_b32 vcc_lo, exec_lo, s33
	s_cbranch_vccnz .LBB0_12
; %bb.3:
	s_add_nc_u64 s[38:39], s[28:29], 16
	s_add_nc_u64 s[40:41], s[18:19], 16
	;; [unrolled: 1-line block ×3, first 2 shown]
	s_mov_b64 s[42:43], 2
	s_mov_b32 s44, 0
.LBB0_4:                                ; =>This Inner Loop Header: Depth=1
	s_load_b64 s[46:47], s[16:17], 0x0
                                        ; implicit-def: $sgpr50_sgpr51
	s_wait_kmcnt 0x0
	s_or_b64 s[48:49], s[22:23], s[46:47]
	s_delay_alu instid0(SALU_CYCLE_1)
	s_mov_b32 s45, s49
	s_mov_b32 s49, -1
	s_cmp_lg_u64 s[44:45], 0
	s_cbranch_scc0 .LBB0_6
; %bb.5:                                ;   in Loop: Header=BB0_4 Depth=1
	s_cvt_f32_u32 s33, s46
	s_cvt_f32_u32 s45, s47
	s_sub_nc_u64 s[52:53], 0, s[46:47]
	s_mov_b32 s49, 0
	s_mov_b32 s57, s44
	s_wait_alu 0xfffe
	s_fmamk_f32 s33, s45, 0x4f800000, s33
	s_wait_alu 0xfffe
	s_delay_alu instid0(SALU_CYCLE_2) | instskip(NEXT) | instid1(TRANS32_DEP_1)
	v_s_rcp_f32 s33, s33
	s_mul_f32 s33, s33, 0x5f7ffffc
	s_wait_alu 0xfffe
	s_delay_alu instid0(SALU_CYCLE_2) | instskip(NEXT) | instid1(SALU_CYCLE_3)
	s_mul_f32 s45, s33, 0x2f800000
	s_trunc_f32 s45, s45
	s_delay_alu instid0(SALU_CYCLE_3) | instskip(SKIP_2) | instid1(SALU_CYCLE_1)
	s_fmamk_f32 s33, s45, 0xcf800000, s33
	s_cvt_u32_f32 s51, s45
	s_wait_alu 0xfffe
	s_cvt_u32_f32 s50, s33
	s_wait_alu 0xfffe
	s_delay_alu instid0(SALU_CYCLE_2)
	s_mul_u64 s[54:55], s[52:53], s[50:51]
	s_wait_alu 0xfffe
	s_mul_hi_u32 s59, s50, s55
	s_mul_i32 s58, s50, s55
	s_mul_hi_u32 s48, s50, s54
	s_mul_i32 s45, s51, s54
	s_add_nc_u64 s[58:59], s[48:49], s[58:59]
	s_mul_hi_u32 s33, s51, s54
	s_mul_hi_u32 s60, s51, s55
	s_add_co_u32 s45, s58, s45
	s_wait_alu 0xfffe
	s_add_co_ci_u32 s56, s59, s33
	s_mul_i32 s54, s51, s55
	s_add_co_ci_u32 s55, s60, 0
	s_wait_alu 0xfffe
	s_add_nc_u64 s[54:55], s[56:57], s[54:55]
	s_wait_alu 0xfffe
	v_add_co_u32 v1, s33, s50, s54
	s_delay_alu instid0(VALU_DEP_1) | instskip(SKIP_1) | instid1(VALU_DEP_1)
	s_cmp_lg_u32 s33, 0
	s_add_co_ci_u32 s51, s51, s55
	v_readfirstlane_b32 s50, v1
	s_mov_b32 s55, s44
	s_wait_alu 0xfffe
	s_delay_alu instid0(VALU_DEP_1)
	s_mul_u64 s[52:53], s[52:53], s[50:51]
	s_wait_alu 0xfffe
	s_mul_hi_u32 s57, s50, s53
	s_mul_i32 s56, s50, s53
	s_mul_hi_u32 s48, s50, s52
	s_mul_i32 s45, s51, s52
	s_add_nc_u64 s[56:57], s[48:49], s[56:57]
	s_mul_hi_u32 s33, s51, s52
	s_mul_hi_u32 s50, s51, s53
	s_add_co_u32 s45, s56, s45
	s_wait_alu 0xfffe
	s_add_co_ci_u32 s54, s57, s33
	s_mul_i32 s52, s51, s53
	s_add_co_ci_u32 s53, s50, 0
	s_wait_alu 0xfffe
	s_add_nc_u64 s[52:53], s[54:55], s[52:53]
	s_wait_alu 0xfffe
	v_add_co_u32 v1, s33, v1, s52
	s_delay_alu instid0(VALU_DEP_1) | instskip(SKIP_1) | instid1(VALU_DEP_1)
	s_cmp_lg_u32 s33, 0
	s_add_co_ci_u32 s33, s51, s53
	v_readfirstlane_b32 s45, v1
	s_wait_alu 0xfffe
	s_mul_hi_u32 s51, s22, s33
	s_mul_i32 s50, s22, s33
	s_mul_hi_u32 s53, s23, s33
	s_mul_i32 s52, s23, s33
	;; [unrolled: 2-line block ×3, first 2 shown]
	s_wait_alu 0xfffe
	s_add_nc_u64 s[50:51], s[48:49], s[50:51]
	s_mul_hi_u32 s45, s23, s45
	s_wait_alu 0xfffe
	s_add_co_u32 s33, s50, s33
	s_add_co_ci_u32 s54, s51, s45
	s_add_co_ci_u32 s53, s53, 0
	s_wait_alu 0xfffe
	s_add_nc_u64 s[50:51], s[54:55], s[52:53]
	s_wait_alu 0xfffe
	s_mul_u64 s[52:53], s[46:47], s[50:51]
	s_add_nc_u64 s[54:55], s[50:51], 1
	s_wait_alu 0xfffe
	v_sub_co_u32 v1, s33, s22, s52
	s_sub_co_i32 s45, s23, s53
	s_cmp_lg_u32 s33, 0
	s_add_nc_u64 s[56:57], s[50:51], 2
	s_delay_alu instid0(VALU_DEP_1) | instskip(SKIP_2) | instid1(VALU_DEP_1)
	v_sub_co_u32 v2, s48, v1, s46
	s_sub_co_ci_u32 s45, s45, s47
	s_cmp_lg_u32 s48, 0
	v_readfirstlane_b32 s48, v2
	s_sub_co_ci_u32 s45, s45, 0
	s_delay_alu instid0(SALU_CYCLE_1) | instskip(SKIP_1) | instid1(VALU_DEP_1)
	s_cmp_ge_u32 s45, s47
	s_cselect_b32 s52, -1, 0
	s_cmp_ge_u32 s48, s46
	s_cselect_b32 s48, -1, 0
	s_cmp_eq_u32 s45, s47
	s_wait_alu 0xfffe
	s_cselect_b32 s45, s48, s52
	s_delay_alu instid0(SALU_CYCLE_1)
	s_cmp_lg_u32 s45, 0
	s_cselect_b32 s45, s56, s54
	s_cselect_b32 s48, s57, s55
	s_cmp_lg_u32 s33, 0
	v_readfirstlane_b32 s33, v1
	s_sub_co_ci_u32 s52, s23, s53
	s_wait_alu 0xfffe
	s_cmp_ge_u32 s52, s47
	s_cselect_b32 s53, -1, 0
	s_cmp_ge_u32 s33, s46
	s_cselect_b32 s33, -1, 0
	s_cmp_eq_u32 s52, s47
	s_wait_alu 0xfffe
	s_cselect_b32 s33, s33, s53
	s_wait_alu 0xfffe
	s_cmp_lg_u32 s33, 0
	s_cselect_b32 s51, s48, s51
	s_cselect_b32 s50, s45, s50
.LBB0_6:                                ;   in Loop: Header=BB0_4 Depth=1
	s_and_not1_b32 vcc_lo, exec_lo, s49
	s_cbranch_vccnz .LBB0_8
; %bb.7:                                ;   in Loop: Header=BB0_4 Depth=1
	v_cvt_f32_u32_e32 v1, s46
	s_sub_co_i32 s45, 0, s46
	s_mov_b32 s51, s44
	s_delay_alu instid0(VALU_DEP_1) | instskip(NEXT) | instid1(TRANS32_DEP_1)
	v_rcp_iflag_f32_e32 v1, v1
	v_mul_f32_e32 v1, 0x4f7ffffe, v1
	s_delay_alu instid0(VALU_DEP_1) | instskip(NEXT) | instid1(VALU_DEP_1)
	v_cvt_u32_f32_e32 v1, v1
	v_readfirstlane_b32 s33, v1
	s_delay_alu instid0(VALU_DEP_1) | instskip(NEXT) | instid1(SALU_CYCLE_1)
	s_mul_i32 s45, s45, s33
	s_mul_hi_u32 s45, s33, s45
	s_delay_alu instid0(SALU_CYCLE_1)
	s_add_co_i32 s33, s33, s45
	s_wait_alu 0xfffe
	s_mul_hi_u32 s33, s22, s33
	s_wait_alu 0xfffe
	s_mul_i32 s45, s33, s46
	s_add_co_i32 s48, s33, 1
	s_sub_co_i32 s45, s22, s45
	s_delay_alu instid0(SALU_CYCLE_1)
	s_sub_co_i32 s49, s45, s46
	s_cmp_ge_u32 s45, s46
	s_cselect_b32 s33, s48, s33
	s_cselect_b32 s45, s49, s45
	s_wait_alu 0xfffe
	s_add_co_i32 s48, s33, 1
	s_cmp_ge_u32 s45, s46
	s_cselect_b32 s50, s48, s33
.LBB0_8:                                ;   in Loop: Header=BB0_4 Depth=1
	s_load_b64 s[48:49], s[40:41], 0x0
	s_load_b64 s[52:53], s[38:39], 0x0
	s_add_nc_u64 s[42:43], s[42:43], 1
	s_mul_u64 s[2:3], s[46:47], s[2:3]
	s_wait_alu 0xfffe
	v_cmp_ge_u64_e64 s33, s[42:43], s[10:11]
	s_mul_u64 s[46:47], s[50:51], s[46:47]
	s_add_nc_u64 s[38:39], s[38:39], 8
	s_wait_alu 0xfffe
	s_sub_nc_u64 s[22:23], s[22:23], s[46:47]
	s_add_nc_u64 s[40:41], s[40:41], 8
	s_add_nc_u64 s[16:17], s[16:17], 8
	s_and_b32 vcc_lo, exec_lo, s33
	s_wait_kmcnt 0x0
	s_wait_alu 0xfffe
	s_mul_u64 s[46:47], s[48:49], s[22:23]
	s_mul_u64 s[22:23], s[52:53], s[22:23]
	s_wait_alu 0xfffe
	s_add_nc_u64 s[34:35], s[46:47], s[34:35]
	s_add_nc_u64 s[20:21], s[22:23], s[20:21]
	s_cbranch_vccnz .LBB0_10
; %bb.9:                                ;   in Loop: Header=BB0_4 Depth=1
	s_mov_b64 s[22:23], s[50:51]
	s_branch .LBB0_4
.LBB0_10:
	v_cmp_lt_u64_e64 s3, s[36:37], s[2:3]
	s_mov_b64 s[22:23], 0
	s_delay_alu instid0(VALU_DEP_1)
	s_and_b32 vcc_lo, exec_lo, s3
	s_cbranch_vccnz .LBB0_12
; %bb.11:
	v_cvt_f32_u32_e32 v1, s2
	s_sub_co_i32 s16, 0, s2
	s_mov_b32 s23, 0
	s_delay_alu instid0(VALU_DEP_1) | instskip(NEXT) | instid1(TRANS32_DEP_1)
	v_rcp_iflag_f32_e32 v1, v1
	v_mul_f32_e32 v1, 0x4f7ffffe, v1
	s_delay_alu instid0(VALU_DEP_1) | instskip(NEXT) | instid1(VALU_DEP_1)
	v_cvt_u32_f32_e32 v1, v1
	v_readfirstlane_b32 s3, v1
	s_delay_alu instid0(VALU_DEP_1) | instskip(NEXT) | instid1(SALU_CYCLE_1)
	s_mul_i32 s16, s16, s3
	s_mul_hi_u32 s16, s3, s16
	s_delay_alu instid0(SALU_CYCLE_1)
	s_add_co_i32 s3, s3, s16
	s_wait_alu 0xfffe
	s_mul_hi_u32 s3, s36, s3
	s_wait_alu 0xfffe
	s_mul_i32 s16, s3, s2
	s_add_co_i32 s17, s3, 1
	s_sub_co_i32 s16, s36, s16
	s_delay_alu instid0(SALU_CYCLE_1)
	s_sub_co_i32 s22, s16, s2
	s_cmp_ge_u32 s16, s2
	s_cselect_b32 s3, s17, s3
	s_wait_alu 0xfffe
	s_cselect_b32 s16, s22, s16
	s_add_co_i32 s17, s3, 1
	s_cmp_ge_u32 s16, s2
	s_cselect_b32 s22, s17, s3
.LBB0_12:
	s_load_b128 s[0:3], s[0:1], 0x60
	v_dual_mov_b32 v2, s27 :: v_dual_and_b32 v7, 7, v0
	s_add_nc_u64 s[16:17], s[26:27], 8
	v_lshrrev_b32_e32 v8, 3, v0
	v_cmp_le_u64_e64 s16, s[16:17], s[30:31]
	s_delay_alu instid0(VALU_DEP_3)
	v_or_b32_e32 v1, s26, v7
	v_mul_u32_u24_e32 v9, 0x180, v7
	s_lshl_b64 s[10:11], s[10:11], 3
	v_lshlrev_b32_e32 v10, 2, v8
	v_add_nc_u32_e32 v6, 32, v8
	v_cmp_gt_u64_e32 vcc_lo, s[30:31], v[1:2]
	v_add_nc_u32_e32 v5, 64, v8
	s_or_b32 s16, s16, vcc_lo
	s_wait_alu 0xfffe
	s_and_saveexec_b32 s17, s16
	s_cbranch_execz .LBB0_14
; %bb.13:
	s_add_nc_u64 s[18:19], s[18:19], s[10:11]
	v_mad_co_u64_u32 v[1:2], null, s14, v7, 0
	s_load_b64 s[18:19], s[18:19], 0x0
	v_mad_co_u64_u32 v[3:4], null, s12, v8, 0
	v_mad_co_u64_u32 v[11:12], null, s12, v6, 0
	;; [unrolled: 1-line block ×3, first 2 shown]
	s_delay_alu instid0(VALU_DEP_3) | instskip(NEXT) | instid1(VALU_DEP_4)
	v_mad_co_u64_u32 v[15:16], null, s15, v7, v[2:3]
	v_mad_co_u64_u32 v[16:17], null, s13, v8, v[4:5]
	s_delay_alu instid0(VALU_DEP_4) | instskip(NEXT) | instid1(VALU_DEP_4)
	v_mov_b32_e32 v4, v12
	v_mov_b32_e32 v12, v14
	s_lshl_b64 s[14:15], s[34:35], 2
	s_delay_alu instid0(VALU_DEP_4) | instskip(NEXT) | instid1(VALU_DEP_3)
	v_mov_b32_e32 v2, v15
	v_mad_co_u64_u32 v[14:15], null, s13, v6, v[4:5]
	s_wait_kmcnt 0x0
	s_mul_u64 s[18:19], s[18:19], s[22:23]
	v_mov_b32_e32 v4, v16
	v_mad_co_u64_u32 v[15:16], null, s13, v5, v[12:13]
	s_lshl_b64 s[18:19], s[18:19], 2
	v_lshlrev_b64_e32 v[1:2], 2, v[1:2]
	s_add_nc_u64 s[0:1], s[0:1], s[18:19]
	v_mov_b32_e32 v12, v14
	s_wait_alu 0xfffe
	s_add_nc_u64 s[0:1], s[0:1], s[14:15]
	v_lshlrev_b64_e32 v[3:4], 2, v[3:4]
	v_mov_b32_e32 v14, v15
	v_add_co_u32 v16, vcc_lo, s0, v1
	v_add_co_ci_u32_e32 v17, vcc_lo, s1, v2, vcc_lo
	v_lshlrev_b64_e32 v[1:2], 2, v[11:12]
	s_delay_alu instid0(VALU_DEP_3) | instskip(SKIP_3) | instid1(VALU_DEP_4)
	v_add_co_u32 v3, vcc_lo, v16, v3
	v_lshlrev_b64_e32 v[11:12], 2, v[13:14]
	s_wait_alu 0xfffd
	v_add_co_ci_u32_e32 v4, vcc_lo, v17, v4, vcc_lo
	v_add_co_u32 v1, vcc_lo, v16, v1
	s_wait_alu 0xfffd
	v_add_co_ci_u32_e32 v2, vcc_lo, v17, v2, vcc_lo
	v_add_co_u32 v11, vcc_lo, v16, v11
	s_wait_alu 0xfffd
	v_add_co_ci_u32_e32 v12, vcc_lo, v17, v12, vcc_lo
	s_clause 0x2
	global_load_b32 v3, v[3:4], off
	global_load_b32 v1, v[1:2], off
	;; [unrolled: 1-line block ×3, first 2 shown]
	v_add3_u32 v4, 0, v9, v10
	s_wait_loadcnt 0x1
	ds_store_2addr_b32 v4, v3, v1 offset1:32
	s_wait_loadcnt 0x0
	ds_store_b32 v4, v2 offset:256
.LBB0_14:
	s_wait_alu 0xfffe
	s_or_b32 exec_lo, exec_lo, s17
	v_bfe_u32 v1, v0, 5, 3
	v_and_b32_e32 v15, 31, v0
	global_wb scope:SCOPE_SE
	s_wait_dscnt 0x0
	s_wait_kmcnt 0x0
	s_barrier_signal -1
	s_barrier_wait -1
	v_mul_u32_u24_e32 v1, 0x60, v1
	v_lshlrev_b32_e32 v2, 2, v15
	global_inv scope:SCOPE_SE
	s_add_nc_u64 s[0:1], s[28:29], s[10:11]
	s_mov_b32 s10, exec_lo
	v_lshlrev_b32_e32 v16, 2, v1
	v_add_nc_u32_e32 v14, 0, v2
	s_delay_alu instid0(VALU_DEP_2) | instskip(NEXT) | instid1(VALU_DEP_2)
	v_add3_u32 v12, 0, v16, v2
	v_add_nc_u32_e32 v11, v14, v16
	ds_load_2addr_b32 v[1:2], v11 offset0:12 offset1:24
	ds_load_2addr_b32 v[3:4], v11 offset0:36 offset1:48
	;; [unrolled: 1-line block ×3, first 2 shown]
	ds_load_b32 v20, v12
	ds_load_b32 v13, v11 offset:336
	global_wb scope:SCOPE_SE
	s_wait_dscnt 0x0
	s_barrier_signal -1
	s_barrier_wait -1
	global_inv scope:SCOPE_SE
	v_pk_add_f16 v19, v2, v18 neg_lo:[0,1] neg_hi:[0,1]
	v_pk_add_f16 v23, v20, v4 neg_lo:[0,1] neg_hi:[0,1]
	;; [unrolled: 1-line block ×4, first 2 shown]
	s_delay_alu instid0(VALU_DEP_4) | instskip(NEXT) | instid1(VALU_DEP_4)
	v_lshrrev_b32_e32 v4, 16, v19
	v_lshrrev_b32_e32 v22, 16, v23
	s_delay_alu instid0(VALU_DEP_4) | instskip(NEXT) | instid1(VALU_DEP_4)
	v_lshrrev_b32_e32 v13, 16, v21
	v_lshrrev_b32_e32 v26, 16, v24
	s_delay_alu instid0(VALU_DEP_4) | instskip(NEXT) | instid1(VALU_DEP_4)
	v_add_f16_e32 v27, v23, v4
	v_sub_f16_e32 v25, v22, v19
	s_delay_alu instid0(VALU_DEP_4) | instskip(NEXT) | instid1(VALU_DEP_4)
	v_add_f16_e32 v28, v24, v13
	v_sub_f16_e32 v29, v26, v21
	s_delay_alu instid0(VALU_DEP_2) | instskip(NEXT) | instid1(VALU_DEP_2)
	v_fmamk_f16 v17, v28, 0x39a8, v27
	v_fmamk_f16 v18, v29, 0x39a8, v25
	s_delay_alu instid0(VALU_DEP_2) | instskip(NEXT) | instid1(VALU_DEP_2)
	v_fmac_f16_e32 v17, 0x39a8, v29
	v_fmac_f16_e32 v18, 0xb9a8, v28
	s_delay_alu instid0(VALU_DEP_2) | instskip(NEXT) | instid1(VALU_DEP_2)
	v_fma_f16 v4, v27, 2.0, -v17
	v_fma_f16 v13, v25, 2.0, -v18
	v_cmpx_gt_u32_e32 12, v15
	s_cbranch_execz .LBB0_16
; %bb.15:
	v_pk_fma_f16 v20, v20, 2.0, v23 op_sel_hi:[1,0,1] neg_lo:[0,0,1] neg_hi:[0,0,1]
	v_pk_fma_f16 v1, v1, 2.0, v24 op_sel_hi:[1,0,1] neg_lo:[0,0,1] neg_hi:[0,0,1]
	;; [unrolled: 1-line block ×4, first 2 shown]
	v_fma_f16 v27, v23, 2.0, -v27
	v_fma_f16 v26, v26, 2.0, -v29
	;; [unrolled: 1-line block ×4, first 2 shown]
	v_pk_add_f16 v3, v1, v3 neg_lo:[0,1] neg_hi:[0,1]
	v_pk_add_f16 v2, v20, v2 neg_lo:[0,1] neg_hi:[0,1]
	v_perm_b32 v17, v18, v17, 0x5040100
	v_fmamk_f16 v19, v28, 0xb9a8, v27
	v_fmamk_f16 v22, v26, 0xb9a8, v21
	v_lshrrev_b32_e32 v23, 16, v3
	v_lshrrev_b32_e32 v24, 16, v2
	v_pk_fma_f16 v20, v20, 2.0, v2 op_sel_hi:[1,0,1] neg_lo:[0,0,1] neg_hi:[0,0,1]
	v_fmac_f16_e32 v19, 0x39a8, v26
	v_fmac_f16_e32 v22, 0xb9a8, v28
	v_pk_fma_f16 v1, v1, 2.0, v3 op_sel_hi:[1,0,1] neg_lo:[0,0,1] neg_hi:[0,0,1]
	v_add_f16_e32 v23, v2, v23
	v_sub_f16_e32 v3, v24, v3
	v_fma_f16 v25, v27, 2.0, -v19
	v_fma_f16 v21, v21, 2.0, -v22
	v_mul_u32_u24_e32 v26, 28, v15
	v_pk_add_f16 v1, v20, v1 neg_lo:[0,1] neg_hi:[0,1]
	v_fma_f16 v2, v2, 2.0, -v23
	v_fma_f16 v24, v24, 2.0, -v3
	v_pack_b32_f16 v21, v25, v21
	v_add3_u32 v14, v14, v26, v16
	v_pk_fma_f16 v20, v20, 2.0, v1 op_sel_hi:[1,0,1] neg_lo:[0,0,1] neg_hi:[0,0,1]
	v_pack_b32_f16 v19, v19, v22
	v_pack_b32_f16 v2, v2, v24
	v_perm_b32 v24, v13, v4, 0x5040100
	v_pack_b32_f16 v3, v23, v3
	ds_store_2addr_b32 v14, v20, v21 offset1:1
	ds_store_2addr_b32 v14, v2, v24 offset0:2 offset1:3
	ds_store_2addr_b32 v14, v1, v19 offset0:4 offset1:5
	;; [unrolled: 1-line block ×3, first 2 shown]
.LBB0_16:
	s_wait_alu 0xfffe
	s_or_b32 exec_lo, exec_lo, s10
	v_lshlrev_b32_e32 v1, 3, v7
	s_load_b64 s[10:11], s[0:1], 0x0
	global_wb scope:SCOPE_SE
	s_wait_dscnt 0x0
	s_wait_kmcnt 0x0
	s_barrier_signal -1
	s_barrier_wait -1
	global_inv scope:SCOPE_SE
	global_load_b64 v[1:2], v1, s[24:25]
	ds_load_2addr_b32 v[17:18], v11 offset0:32 offset1:64
	ds_load_b32 v14, v12
	v_lshrrev_b32_e32 v3, 3, v15
	v_cmp_gt_u32_e32 vcc_lo, 24, v15
	v_cmp_lt_u32_e64 s0, 23, v15
	global_wb scope:SCOPE_SE
	s_wait_loadcnt_dscnt 0x0
	s_barrier_signal -1
	v_mul_u32_u24_e32 v3, 24, v3
	s_barrier_wait -1
	global_inv scope:SCOPE_SE
	v_or_b32_e32 v3, v3, v7
	v_lshrrev_b32_e32 v19, 16, v17
	v_lshrrev_b32_e32 v20, 16, v18
	;; [unrolled: 1-line block ×4, first 2 shown]
	s_delay_alu instid0(VALU_DEP_2) | instskip(NEXT) | instid1(VALU_DEP_2)
	v_mul_f16_e32 v23, v21, v19
	v_mul_f16_e32 v24, v22, v20
	;; [unrolled: 1-line block ×4, first 2 shown]
	s_delay_alu instid0(VALU_DEP_4) | instskip(NEXT) | instid1(VALU_DEP_4)
	v_fmac_f16_e32 v23, v1, v17
	v_fmac_f16_e32 v24, v2, v18
	s_delay_alu instid0(VALU_DEP_4) | instskip(NEXT) | instid1(VALU_DEP_4)
	v_fma_f16 v1, v1, v19, -v21
	v_fma_f16 v18, v2, v20, -v22
	v_lshlrev_b32_e32 v19, 2, v3
	v_lshrrev_b32_e32 v3, 16, v14
	v_add_f16_e32 v2, v23, v24
	v_add_f16_e32 v17, v23, v14
	;; [unrolled: 1-line block ×3, first 2 shown]
	v_sub_f16_e32 v21, v1, v18
	v_add_f16_e32 v1, v1, v3
	v_fma_f16 v2, -0.5, v2, v14
	v_sub_f16_e32 v22, v23, v24
	v_fmac_f16_e32 v3, -0.5, v20
	v_add_f16_e32 v17, v17, v24
	v_add_f16_e32 v18, v1, v18
	v_fmamk_f16 v1, v21, 0xbaee, v2
	v_fmac_f16_e32 v2, 0x3aee, v21
	v_fmamk_f16 v14, v22, 0x3aee, v3
	v_fmac_f16_e32 v3, 0xbaee, v22
	v_add3_u32 v16, 0, v19, v16
	v_pack_b32_f16 v19, v17, v18
	s_delay_alu instid0(VALU_DEP_4) | instskip(NEXT) | instid1(VALU_DEP_4)
	v_pack_b32_f16 v20, v1, v14
	v_pack_b32_f16 v21, v2, v3
	ds_store_2addr_b32 v16, v19, v20 offset1:8
	ds_store_b32 v16, v21 offset:64
	global_wb scope:SCOPE_SE
	s_wait_dscnt 0x0
	s_barrier_signal -1
	s_barrier_wait -1
	global_inv scope:SCOPE_SE
                                        ; implicit-def: $vgpr16
	s_and_saveexec_b32 s1, s0
	s_wait_alu 0xfffe
	s_xor_b32 s0, exec_lo, s1
; %bb.17:
	v_lshlrev_b32_e32 v16, 16, v18
	v_and_b32_e32 v17, 0xffff, v17
	s_delay_alu instid0(VALU_DEP_1)
	v_or_b32_e32 v16, v16, v17
; %bb.18:
	s_wait_alu 0xfffe
	s_or_saveexec_b32 s0, s0
	v_lshrrev_b32_e32 v0, 5, v0
	s_wait_alu 0xfffe
	s_xor_b32 exec_lo, exec_lo, s0
	s_cbranch_execz .LBB0_20
; %bb.19:
	ds_load_2addr_b32 v[1:2], v11 offset0:24 offset1:48
	ds_load_b32 v4, v11 offset:288
	ds_load_b32 v16, v12
	s_wait_dscnt 0x2
	v_lshrrev_b32_e32 v14, 16, v1
	v_lshrrev_b32_e32 v3, 16, v2
	s_wait_dscnt 0x1
	v_lshrrev_b32_e32 v13, 16, v4
.LBB0_20:
	s_or_b32 exec_lo, exec_lo, s0
	v_subrev_nc_u32_e32 v17, 24, v15
	s_wait_alu 0xfffd
	s_delay_alu instid0(VALU_DEP_1) | instskip(NEXT) | instid1(VALU_DEP_1)
	v_dual_cndmask_b32 v27, v17, v15 :: v_dual_add_nc_u32 v0, s26, v0
	v_mul_lo_u32 v15, v0, v27
	v_add_nc_u32_e32 v17, 24, v27
	v_add_nc_u32_e32 v18, 48, v27
	;; [unrolled: 1-line block ×3, first 2 shown]
	s_delay_alu instid0(VALU_DEP_3) | instskip(NEXT) | instid1(VALU_DEP_3)
	v_mul_lo_u32 v17, v0, v17
	v_mul_lo_u32 v18, v0, v18
	s_delay_alu instid0(VALU_DEP_3) | instskip(SKIP_3) | instid1(VALU_DEP_3)
	v_mul_lo_u32 v0, v0, v19
	v_and_b32_e32 v20, 0xff, v15
	v_lshrrev_b32_e32 v21, 6, v15
	v_lshrrev_b32_e32 v15, 14, v15
	v_lshlrev_b32_e32 v19, 2, v20
	v_and_b32_e32 v20, 0xff, v17
	v_lshrrev_b32_e32 v22, 6, v17
	v_lshrrev_b32_e32 v17, 14, v17
	v_and_b32_e32 v23, 0xff, v18
	v_lshrrev_b32_e32 v24, 6, v18
	v_lshrrev_b32_e32 v18, 14, v18
	;; [unrolled: 3-line block ×3, first 2 shown]
	v_and_b32_e32 v21, 0x3fc, v21
	v_and_b32_e32 v15, 0x3fc, v15
	v_lshlrev_b32_e32 v28, 2, v20
	v_and_b32_e32 v22, 0x3fc, v22
	v_and_b32_e32 v17, 0x3fc, v17
	v_lshlrev_b32_e32 v23, 2, v23
	;; [unrolled: 3-line block ×3, first 2 shown]
	v_and_b32_e32 v26, 0x3fc, v26
	v_and_b32_e32 v29, 0x3fc, v0
	s_clause 0xb
	global_load_b32 v20, v19, s[8:9]
	global_load_b32 v19, v21, s[8:9] offset:1024
	global_load_b32 v0, v15, s[8:9] offset:2048
	global_load_b32 v21, v28, s[8:9]
	global_load_b32 v22, v22, s[8:9] offset:1024
	global_load_b32 v15, v17, s[8:9] offset:2048
	global_load_b32 v23, v23, s[8:9]
	global_load_b32 v24, v24, s[8:9] offset:1024
	global_load_b32 v17, v18, s[8:9] offset:2048
	global_load_b32 v25, v25, s[8:9]
	global_load_b32 v26, v26, s[8:9] offset:1024
	global_load_b32 v18, v29, s[8:9] offset:2048
	global_wb scope:SCOPE_SE
	s_wait_loadcnt_dscnt 0x0
	s_barrier_signal -1
	s_barrier_wait -1
	global_inv scope:SCOPE_SE
	s_and_saveexec_b32 s0, vcc_lo
	s_cbranch_execz .LBB0_22
; %bb.21:
	v_mul_i32_i24_e32 v27, 3, v27
	v_mov_b32_e32 v28, 0
	v_lshrrev_b32_e32 v37, 16, v25
	v_lshrrev_b32_e32 v38, 16, v26
	;; [unrolled: 1-line block ×4, first 2 shown]
	v_lshlrev_b64_e32 v[27:28], 2, v[27:28]
	v_lshrrev_b32_e32 v36, 16, v23
	v_lshrrev_b32_e32 v39, 16, v24
	v_mul_f16_e32 v43, v37, v38
	v_mul_f16_e32 v38, v25, v38
	v_lshrrev_b32_e32 v33, 16, v21
	v_add_co_u32 v27, vcc_lo, s24, v27
	s_wait_alu 0xfffd
	v_add_co_ci_u32_e32 v28, vcc_lo, s25, v28, vcc_lo
	v_lshrrev_b32_e32 v34, 16, v22
	v_lshrrev_b32_e32 v41, 16, v18
	v_mul_f16_e32 v44, v36, v39
	global_load_b96 v[27:29], v[27:28], off offset:64
	v_mul_f16_e32 v39, v23, v39
	v_mul_f16_e32 v46, v30, v31
	;; [unrolled: 1-line block ×3, first 2 shown]
	v_fmac_f16_e32 v38, v37, v26
	v_lshrrev_b32_e32 v40, 16, v17
	v_mul_f16_e32 v45, v33, v34
	v_mul_f16_e32 v34, v21, v34
	v_fma_f16 v25, v25, v26, -v43
	v_fmac_f16_e32 v39, v36, v24
	v_fma_f16 v20, v20, v19, -v46
	v_fmac_f16_e32 v31, v30, v19
	v_mul_f16_e32 v19, v38, v41
	v_fma_f16 v23, v23, v24, -v44
	v_fma_f16 v21, v21, v22, -v45
	v_fmac_f16_e32 v34, v33, v22
	v_mul_f16_e32 v22, v25, v41
	v_mul_f16_e32 v24, v39, v40
	v_fma_f16 v19, v18, v25, -v19
	v_mul_f16_e32 v26, v23, v40
	v_lshrrev_b32_e32 v32, 16, v0
	v_fmac_f16_e32 v22, v18, v38
	v_fma_f16 v18, v17, v23, -v24
	v_lshrrev_b32_e32 v35, 16, v15
	v_lshrrev_b32_e32 v42, 16, v16
	v_fmac_f16_e32 v26, v17, v39
	s_delay_alu instid0(VALU_DEP_3) | instskip(SKIP_3) | instid1(VALU_DEP_3)
	v_mul_f16_e32 v30, v34, v35
	v_mul_f16_e32 v33, v21, v35
	v_mul_f16_e32 v35, v31, v32
	v_mul_f16_e32 v32, v20, v32
	v_fmac_f16_e32 v33, v15, v34
	s_delay_alu instid0(VALU_DEP_2) | instskip(SKIP_4) | instid1(VALU_DEP_3)
	v_fmac_f16_e32 v32, v0, v31
	s_wait_loadcnt 0x0
	v_lshrrev_b32_e32 v25, 16, v28
	v_lshrrev_b32_e32 v36, 16, v27
	;; [unrolled: 1-line block ×3, first 2 shown]
	v_mul_f16_e32 v23, v2, v25
	s_delay_alu instid0(VALU_DEP_3) | instskip(NEXT) | instid1(VALU_DEP_3)
	v_mul_f16_e32 v24, v14, v36
	v_mul_f16_e32 v38, v13, v37
	;; [unrolled: 1-line block ×5, first 2 shown]
	v_fma_f16 v3, v3, v28, -v23
	v_fmac_f16_e32 v24, v1, v27
	v_fmac_f16_e32 v38, v4, v29
	v_fmac_f16_e32 v25, v2, v28
	v_fma_f16 v1, v14, v27, -v36
	v_fma_f16 v2, v13, v29, -v37
	v_sub_f16_e32 v3, v42, v3
	v_sub_f16_e32 v4, v24, v38
	;; [unrolled: 1-line block ×3, first 2 shown]
	v_fma_f16 v14, v15, v21, -v30
	v_sub_f16_e32 v2, v1, v2
	v_fma_f16 v15, v0, v20, -v35
	v_sub_f16_e32 v17, v3, v4
	v_fma_f16 v21, v42, 2.0, -v3
	v_fma_f16 v16, v16, 2.0, -v13
	v_add_f16_e32 v20, v13, v2
	v_fma_f16 v4, v24, 2.0, -v4
	v_fma_f16 v1, v1, 2.0, -v2
	;; [unrolled: 1-line block ×3, first 2 shown]
	v_mul_f16_e32 v2, v17, v22
	v_mul_f16_e32 v0, v20, v22
	v_sub_f16_e32 v4, v16, v4
	v_sub_f16_e32 v1, v21, v1
	v_fma_f16 v13, v13, 2.0, -v20
	v_mul_f16_e32 v24, v3, v33
	v_fma_f16 v0, v17, v19, -v0
	v_mul_f16_e32 v17, v4, v26
	v_fma_f16 v16, v16, 2.0, -v4
	v_fma_f16 v21, v21, 2.0, -v1
	v_mul_f16_e32 v22, v1, v26
	v_mul_f16_e32 v23, v13, v33
	v_fma_f16 v1, v1, v18, -v17
	v_mul_f16_e32 v17, v16, v32
	v_mul_f16_e32 v25, v21, v32
	v_fmac_f16_e32 v22, v4, v18
	v_fma_f16 v3, v3, v14, -v23
	v_fmac_f16_e32 v24, v13, v14
	v_fma_f16 v4, v21, v15, -v17
	v_fmac_f16_e32 v25, v16, v15
	v_fmac_f16_e32 v2, v20, v19
	v_pack_b32_f16 v1, v22, v1
	v_pack_b32_f16 v3, v24, v3
	s_delay_alu instid0(VALU_DEP_4) | instskip(NEXT) | instid1(VALU_DEP_4)
	v_pack_b32_f16 v4, v25, v4
	v_pack_b32_f16 v0, v2, v0
	ds_store_2addr_b32 v11, v3, v1 offset0:24 offset1:48
	ds_store_b32 v12, v4
	ds_store_b32 v11, v0 offset:288
.LBB0_22:
	s_wait_alu 0xfffe
	s_or_b32 exec_lo, exec_lo, s0
	global_wb scope:SCOPE_SE
	s_wait_dscnt 0x0
	s_barrier_signal -1
	s_barrier_wait -1
	global_inv scope:SCOPE_SE
	s_and_saveexec_b32 s0, s16
	s_cbranch_execz .LBB0_24
; %bb.23:
	v_mad_co_u64_u32 v[0:1], null, s6, v7, 0
	v_mad_co_u64_u32 v[2:3], null, s4, v8, 0
	v_add3_u32 v14, 0, v9, v10
	v_mad_co_u64_u32 v[9:10], null, s4, v6, 0
	s_mul_u64 s[0:1], s[10:11], s[22:23]
	s_wait_alu 0xfffe
	s_lshl_b64 s[0:1], s[0:1], 2
	s_delay_alu instid0(VALU_DEP_3) | instskip(NEXT) | instid1(VALU_DEP_4)
	v_mad_co_u64_u32 v[11:12], null, s7, v7, v[1:2]
	v_mad_co_u64_u32 v[3:4], null, s5, v8, v[3:4]
	;; [unrolled: 1-line block ×3, first 2 shown]
	s_delay_alu instid0(VALU_DEP_4) | instskip(SKIP_2) | instid1(VALU_DEP_4)
	v_mov_b32_e32 v4, v10
	s_wait_alu 0xfffe
	s_add_nc_u64 s[0:1], s[2:3], s[0:1]
	v_mov_b32_e32 v1, v11
	ds_load_2addr_b32 v[12:13], v14 offset1:32
	s_lshl_b64 s[2:3], s[20:21], 2
	v_mad_co_u64_u32 v[10:11], null, s5, v6, v[4:5]
	v_mov_b32_e32 v4, v8
	v_lshlrev_b64_e32 v[0:1], 2, v[0:1]
	s_wait_alu 0xfffe
	s_add_nc_u64 s[0:1], s[0:1], s[2:3]
	ds_load_b32 v14, v14 offset:256
	v_lshlrev_b64_e32 v[2:3], 2, v[2:3]
	v_mad_co_u64_u32 v[4:5], null, s5, v5, v[4:5]
	s_wait_alu 0xfffe
	v_add_co_u32 v6, vcc_lo, s0, v0
	s_wait_alu 0xfffd
	v_add_co_ci_u32_e32 v11, vcc_lo, s1, v1, vcc_lo
	v_lshlrev_b64_e32 v[0:1], 2, v[9:10]
	s_delay_alu instid0(VALU_DEP_3) | instskip(SKIP_3) | instid1(VALU_DEP_4)
	v_add_co_u32 v2, vcc_lo, v6, v2
	v_mov_b32_e32 v8, v4
	s_wait_alu 0xfffd
	v_add_co_ci_u32_e32 v3, vcc_lo, v11, v3, vcc_lo
	v_add_co_u32 v0, vcc_lo, v6, v0
	s_delay_alu instid0(VALU_DEP_3) | instskip(SKIP_2) | instid1(VALU_DEP_2)
	v_lshlrev_b64_e32 v[4:5], 2, v[7:8]
	s_wait_alu 0xfffd
	v_add_co_ci_u32_e32 v1, vcc_lo, v11, v1, vcc_lo
	v_add_co_u32 v4, vcc_lo, v6, v4
	s_wait_alu 0xfffd
	s_delay_alu instid0(VALU_DEP_3)
	v_add_co_ci_u32_e32 v5, vcc_lo, v11, v5, vcc_lo
	s_wait_dscnt 0x1
	s_clause 0x1
	global_store_b32 v[2:3], v12, off
	global_store_b32 v[0:1], v13, off
	s_wait_dscnt 0x0
	global_store_b32 v[4:5], v14, off
.LBB0_24:
	s_nop 0
	s_sendmsg sendmsg(MSG_DEALLOC_VGPRS)
	s_endpgm
	.section	.rodata,"a",@progbits
	.p2align	6, 0x0
	.amdhsa_kernel fft_rtc_back_len96_factors_8_3_4_wgs_256_tpt_32_half_op_CI_CI_sbcc_twdbase8_3step
		.amdhsa_group_segment_fixed_size 0
		.amdhsa_private_segment_fixed_size 0
		.amdhsa_kernarg_size 112
		.amdhsa_user_sgpr_count 2
		.amdhsa_user_sgpr_dispatch_ptr 0
		.amdhsa_user_sgpr_queue_ptr 0
		.amdhsa_user_sgpr_kernarg_segment_ptr 1
		.amdhsa_user_sgpr_dispatch_id 0
		.amdhsa_user_sgpr_private_segment_size 0
		.amdhsa_wavefront_size32 1
		.amdhsa_uses_dynamic_stack 0
		.amdhsa_enable_private_segment 0
		.amdhsa_system_sgpr_workgroup_id_x 1
		.amdhsa_system_sgpr_workgroup_id_y 0
		.amdhsa_system_sgpr_workgroup_id_z 0
		.amdhsa_system_sgpr_workgroup_info 0
		.amdhsa_system_vgpr_workitem_id 0
		.amdhsa_next_free_vgpr 47
		.amdhsa_next_free_sgpr 61
		.amdhsa_reserve_vcc 1
		.amdhsa_float_round_mode_32 0
		.amdhsa_float_round_mode_16_64 0
		.amdhsa_float_denorm_mode_32 3
		.amdhsa_float_denorm_mode_16_64 3
		.amdhsa_fp16_overflow 0
		.amdhsa_workgroup_processor_mode 1
		.amdhsa_memory_ordered 1
		.amdhsa_forward_progress 0
		.amdhsa_round_robin_scheduling 0
		.amdhsa_exception_fp_ieee_invalid_op 0
		.amdhsa_exception_fp_denorm_src 0
		.amdhsa_exception_fp_ieee_div_zero 0
		.amdhsa_exception_fp_ieee_overflow 0
		.amdhsa_exception_fp_ieee_underflow 0
		.amdhsa_exception_fp_ieee_inexact 0
		.amdhsa_exception_int_div_zero 0
	.end_amdhsa_kernel
	.text
.Lfunc_end0:
	.size	fft_rtc_back_len96_factors_8_3_4_wgs_256_tpt_32_half_op_CI_CI_sbcc_twdbase8_3step, .Lfunc_end0-fft_rtc_back_len96_factors_8_3_4_wgs_256_tpt_32_half_op_CI_CI_sbcc_twdbase8_3step
                                        ; -- End function
	.section	.AMDGPU.csdata,"",@progbits
; Kernel info:
; codeLenInByte = 4072
; NumSgprs: 63
; NumVgprs: 47
; ScratchSize: 0
; MemoryBound: 0
; FloatMode: 240
; IeeeMode: 1
; LDSByteSize: 0 bytes/workgroup (compile time only)
; SGPRBlocks: 7
; VGPRBlocks: 5
; NumSGPRsForWavesPerEU: 63
; NumVGPRsForWavesPerEU: 47
; Occupancy: 16
; WaveLimiterHint : 1
; COMPUTE_PGM_RSRC2:SCRATCH_EN: 0
; COMPUTE_PGM_RSRC2:USER_SGPR: 2
; COMPUTE_PGM_RSRC2:TRAP_HANDLER: 0
; COMPUTE_PGM_RSRC2:TGID_X_EN: 1
; COMPUTE_PGM_RSRC2:TGID_Y_EN: 0
; COMPUTE_PGM_RSRC2:TGID_Z_EN: 0
; COMPUTE_PGM_RSRC2:TIDIG_COMP_CNT: 0
	.text
	.p2alignl 7, 3214868480
	.fill 96, 4, 3214868480
	.type	__hip_cuid_a4f2f8464dd3d384,@object ; @__hip_cuid_a4f2f8464dd3d384
	.section	.bss,"aw",@nobits
	.globl	__hip_cuid_a4f2f8464dd3d384
__hip_cuid_a4f2f8464dd3d384:
	.byte	0                               ; 0x0
	.size	__hip_cuid_a4f2f8464dd3d384, 1

	.ident	"AMD clang version 19.0.0git (https://github.com/RadeonOpenCompute/llvm-project roc-6.4.0 25133 c7fe45cf4b819c5991fe208aaa96edf142730f1d)"
	.section	".note.GNU-stack","",@progbits
	.addrsig
	.addrsig_sym __hip_cuid_a4f2f8464dd3d384
	.amdgpu_metadata
---
amdhsa.kernels:
  - .args:
      - .actual_access:  read_only
        .address_space:  global
        .offset:         0
        .size:           8
        .value_kind:     global_buffer
      - .address_space:  global
        .offset:         8
        .size:           8
        .value_kind:     global_buffer
      - .offset:         16
        .size:           8
        .value_kind:     by_value
      - .actual_access:  read_only
        .address_space:  global
        .offset:         24
        .size:           8
        .value_kind:     global_buffer
      - .actual_access:  read_only
        .address_space:  global
        .offset:         32
        .size:           8
        .value_kind:     global_buffer
      - .actual_access:  read_only
        .address_space:  global
        .offset:         40
        .size:           8
        .value_kind:     global_buffer
      - .offset:         48
        .size:           8
        .value_kind:     by_value
      - .actual_access:  read_only
        .address_space:  global
        .offset:         56
        .size:           8
        .value_kind:     global_buffer
      - .actual_access:  read_only
        .address_space:  global
        .offset:         64
        .size:           8
        .value_kind:     global_buffer
      - .offset:         72
        .size:           4
        .value_kind:     by_value
      - .actual_access:  read_only
        .address_space:  global
        .offset:         80
        .size:           8
        .value_kind:     global_buffer
      - .actual_access:  read_only
        .address_space:  global
        .offset:         88
        .size:           8
        .value_kind:     global_buffer
      - .actual_access:  read_only
        .address_space:  global
        .offset:         96
        .size:           8
        .value_kind:     global_buffer
      - .actual_access:  write_only
        .address_space:  global
        .offset:         104
        .size:           8
        .value_kind:     global_buffer
    .group_segment_fixed_size: 0
    .kernarg_segment_align: 8
    .kernarg_segment_size: 112
    .language:       OpenCL C
    .language_version:
      - 2
      - 0
    .max_flat_workgroup_size: 256
    .name:           fft_rtc_back_len96_factors_8_3_4_wgs_256_tpt_32_half_op_CI_CI_sbcc_twdbase8_3step
    .private_segment_fixed_size: 0
    .sgpr_count:     63
    .sgpr_spill_count: 0
    .symbol:         fft_rtc_back_len96_factors_8_3_4_wgs_256_tpt_32_half_op_CI_CI_sbcc_twdbase8_3step.kd
    .uniform_work_group_size: 1
    .uses_dynamic_stack: false
    .vgpr_count:     47
    .vgpr_spill_count: 0
    .wavefront_size: 32
    .workgroup_processor_mode: 1
amdhsa.target:   amdgcn-amd-amdhsa--gfx1201
amdhsa.version:
  - 1
  - 2
...

	.end_amdgpu_metadata
